;; amdgpu-corpus repo=llvm/llvm-project kind=harvested arch=n/a opt=n/a
// NOTE: Assertions have been autogenerated by utils/update_mc_test_checks.py UTC_ARGS: --unique --sort --version 6
// RUN: llvm-mc -triple=amdgcn -mcpu=tahiti -show-encoding %s | FileCheck -check-prefix=SI %s
// RUN: llvm-mc -triple=amdgcn -mcpu=tonga -show-encoding %s | FileCheck -check-prefix=VI %s

// The value inv2pi should not assert on any targets, but is
// printed differently depending on whether it's a legal inline
// immediate or not.

v_cvt_f32_f16_e32 v0, 0x3118
// SI: v_cvt_f32_f16_e32 v0, 0x3118            ; encoding: [0xff,0x16,0x00,0x7e,0x18,0x31,0x00,0x00]
// VI: v_cvt_f32_f16_e32 v0, 0.15915494        ; encoding: [0xf8,0x16,0x00,0x7e]
